;; amdgpu-corpus repo=ROCm/rocFFT kind=compiled arch=gfx906 opt=O3
	.text
	.amdgcn_target "amdgcn-amd-amdhsa--gfx906"
	.amdhsa_code_object_version 6
	.protected	fft_rtc_back_len1120_factors_2_2_2_2_2_5_7_wgs_224_tpt_224_halfLds_half_ip_CI_unitstride_sbrr_R2C_dirReg ; -- Begin function fft_rtc_back_len1120_factors_2_2_2_2_2_5_7_wgs_224_tpt_224_halfLds_half_ip_CI_unitstride_sbrr_R2C_dirReg
	.globl	fft_rtc_back_len1120_factors_2_2_2_2_2_5_7_wgs_224_tpt_224_halfLds_half_ip_CI_unitstride_sbrr_R2C_dirReg
	.p2align	8
	.type	fft_rtc_back_len1120_factors_2_2_2_2_2_5_7_wgs_224_tpt_224_halfLds_half_ip_CI_unitstride_sbrr_R2C_dirReg,@function
fft_rtc_back_len1120_factors_2_2_2_2_2_5_7_wgs_224_tpt_224_halfLds_half_ip_CI_unitstride_sbrr_R2C_dirReg: ; @fft_rtc_back_len1120_factors_2_2_2_2_2_5_7_wgs_224_tpt_224_halfLds_half_ip_CI_unitstride_sbrr_R2C_dirReg
; %bb.0:
	s_load_dwordx2 s[12:13], s[4:5], 0x50
	s_load_dwordx4 s[8:11], s[4:5], 0x0
	s_load_dwordx2 s[2:3], s[4:5], 0x18
	v_mul_u32_u24_e32 v1, 0x125, v0
	v_add_u32_sdwa v5, s6, v1 dst_sel:DWORD dst_unused:UNUSED_PAD src0_sel:DWORD src1_sel:WORD_1
	v_mov_b32_e32 v3, 0
	s_waitcnt lgkmcnt(0)
	v_cmp_lt_u64_e64 s[0:1], s[10:11], 2
	v_mov_b32_e32 v1, 0
	v_mov_b32_e32 v6, v3
	s_and_b64 vcc, exec, s[0:1]
	v_mov_b32_e32 v2, 0
	s_cbranch_vccnz .LBB0_8
; %bb.1:
	s_load_dwordx2 s[0:1], s[4:5], 0x10
	s_add_u32 s6, s2, 8
	s_addc_u32 s7, s3, 0
	v_mov_b32_e32 v1, 0
	v_mov_b32_e32 v2, 0
	s_waitcnt lgkmcnt(0)
	s_add_u32 s14, s0, 8
	s_addc_u32 s15, s1, 0
	s_mov_b64 s[16:17], 1
.LBB0_2:                                ; =>This Inner Loop Header: Depth=1
	s_load_dwordx2 s[18:19], s[14:15], 0x0
                                        ; implicit-def: $vgpr7_vgpr8
	s_waitcnt lgkmcnt(0)
	v_or_b32_e32 v4, s19, v6
	v_cmp_ne_u64_e32 vcc, 0, v[3:4]
	s_and_saveexec_b64 s[0:1], vcc
	s_xor_b64 s[20:21], exec, s[0:1]
	s_cbranch_execz .LBB0_4
; %bb.3:                                ;   in Loop: Header=BB0_2 Depth=1
	v_cvt_f32_u32_e32 v4, s18
	v_cvt_f32_u32_e32 v7, s19
	s_sub_u32 s0, 0, s18
	s_subb_u32 s1, 0, s19
	v_mac_f32_e32 v4, 0x4f800000, v7
	v_rcp_f32_e32 v4, v4
	v_mul_f32_e32 v4, 0x5f7ffffc, v4
	v_mul_f32_e32 v7, 0x2f800000, v4
	v_trunc_f32_e32 v7, v7
	v_mac_f32_e32 v4, 0xcf800000, v7
	v_cvt_u32_f32_e32 v7, v7
	v_cvt_u32_f32_e32 v4, v4
	v_mul_lo_u32 v8, s0, v7
	v_mul_hi_u32 v9, s0, v4
	v_mul_lo_u32 v11, s1, v4
	v_mul_lo_u32 v10, s0, v4
	v_add_u32_e32 v8, v9, v8
	v_add_u32_e32 v8, v8, v11
	v_mul_hi_u32 v9, v4, v10
	v_mul_lo_u32 v11, v4, v8
	v_mul_hi_u32 v13, v4, v8
	v_mul_hi_u32 v12, v7, v10
	v_mul_lo_u32 v10, v7, v10
	v_mul_hi_u32 v14, v7, v8
	v_add_co_u32_e32 v9, vcc, v9, v11
	v_addc_co_u32_e32 v11, vcc, 0, v13, vcc
	v_mul_lo_u32 v8, v7, v8
	v_add_co_u32_e32 v9, vcc, v9, v10
	v_addc_co_u32_e32 v9, vcc, v11, v12, vcc
	v_addc_co_u32_e32 v10, vcc, 0, v14, vcc
	v_add_co_u32_e32 v8, vcc, v9, v8
	v_addc_co_u32_e32 v9, vcc, 0, v10, vcc
	v_add_co_u32_e32 v4, vcc, v4, v8
	v_addc_co_u32_e32 v7, vcc, v7, v9, vcc
	v_mul_lo_u32 v8, s0, v7
	v_mul_hi_u32 v9, s0, v4
	v_mul_lo_u32 v10, s1, v4
	v_mul_lo_u32 v11, s0, v4
	v_add_u32_e32 v8, v9, v8
	v_add_u32_e32 v8, v8, v10
	v_mul_lo_u32 v12, v4, v8
	v_mul_hi_u32 v13, v4, v11
	v_mul_hi_u32 v14, v4, v8
	;; [unrolled: 1-line block ×3, first 2 shown]
	v_mul_lo_u32 v11, v7, v11
	v_mul_hi_u32 v9, v7, v8
	v_add_co_u32_e32 v12, vcc, v13, v12
	v_addc_co_u32_e32 v13, vcc, 0, v14, vcc
	v_mul_lo_u32 v8, v7, v8
	v_add_co_u32_e32 v11, vcc, v12, v11
	v_addc_co_u32_e32 v10, vcc, v13, v10, vcc
	v_addc_co_u32_e32 v9, vcc, 0, v9, vcc
	v_add_co_u32_e32 v8, vcc, v10, v8
	v_addc_co_u32_e32 v9, vcc, 0, v9, vcc
	v_add_co_u32_e32 v4, vcc, v4, v8
	v_addc_co_u32_e32 v9, vcc, v7, v9, vcc
	v_mad_u64_u32 v[7:8], s[0:1], v5, v9, 0
	v_mul_hi_u32 v10, v5, v4
	v_add_co_u32_e32 v11, vcc, v10, v7
	v_addc_co_u32_e32 v12, vcc, 0, v8, vcc
	v_mad_u64_u32 v[7:8], s[0:1], v6, v4, 0
	v_mad_u64_u32 v[9:10], s[0:1], v6, v9, 0
	v_add_co_u32_e32 v4, vcc, v11, v7
	v_addc_co_u32_e32 v4, vcc, v12, v8, vcc
	v_addc_co_u32_e32 v7, vcc, 0, v10, vcc
	v_add_co_u32_e32 v4, vcc, v4, v9
	v_addc_co_u32_e32 v9, vcc, 0, v7, vcc
	v_mul_lo_u32 v10, s19, v4
	v_mul_lo_u32 v11, s18, v9
	v_mad_u64_u32 v[7:8], s[0:1], s18, v4, 0
	v_add3_u32 v8, v8, v11, v10
	v_sub_u32_e32 v10, v6, v8
	v_mov_b32_e32 v11, s19
	v_sub_co_u32_e32 v7, vcc, v5, v7
	v_subb_co_u32_e64 v10, s[0:1], v10, v11, vcc
	v_subrev_co_u32_e64 v11, s[0:1], s18, v7
	v_subbrev_co_u32_e64 v10, s[0:1], 0, v10, s[0:1]
	v_cmp_le_u32_e64 s[0:1], s19, v10
	v_cndmask_b32_e64 v12, 0, -1, s[0:1]
	v_cmp_le_u32_e64 s[0:1], s18, v11
	v_cndmask_b32_e64 v11, 0, -1, s[0:1]
	v_cmp_eq_u32_e64 s[0:1], s19, v10
	v_cndmask_b32_e64 v10, v12, v11, s[0:1]
	v_add_co_u32_e64 v11, s[0:1], 2, v4
	v_addc_co_u32_e64 v12, s[0:1], 0, v9, s[0:1]
	v_add_co_u32_e64 v13, s[0:1], 1, v4
	v_addc_co_u32_e64 v14, s[0:1], 0, v9, s[0:1]
	v_subb_co_u32_e32 v8, vcc, v6, v8, vcc
	v_cmp_ne_u32_e64 s[0:1], 0, v10
	v_cmp_le_u32_e32 vcc, s19, v8
	v_cndmask_b32_e64 v10, v14, v12, s[0:1]
	v_cndmask_b32_e64 v12, 0, -1, vcc
	v_cmp_le_u32_e32 vcc, s18, v7
	v_cndmask_b32_e64 v7, 0, -1, vcc
	v_cmp_eq_u32_e32 vcc, s19, v8
	v_cndmask_b32_e32 v7, v12, v7, vcc
	v_cmp_ne_u32_e32 vcc, 0, v7
	v_cndmask_b32_e64 v7, v13, v11, s[0:1]
	v_cndmask_b32_e32 v8, v9, v10, vcc
	v_cndmask_b32_e32 v7, v4, v7, vcc
.LBB0_4:                                ;   in Loop: Header=BB0_2 Depth=1
	s_andn2_saveexec_b64 s[0:1], s[20:21]
	s_cbranch_execz .LBB0_6
; %bb.5:                                ;   in Loop: Header=BB0_2 Depth=1
	v_cvt_f32_u32_e32 v4, s18
	s_sub_i32 s20, 0, s18
	v_rcp_iflag_f32_e32 v4, v4
	v_mul_f32_e32 v4, 0x4f7ffffe, v4
	v_cvt_u32_f32_e32 v4, v4
	v_mul_lo_u32 v7, s20, v4
	v_mul_hi_u32 v7, v4, v7
	v_add_u32_e32 v4, v4, v7
	v_mul_hi_u32 v4, v5, v4
	v_mul_lo_u32 v7, v4, s18
	v_add_u32_e32 v8, 1, v4
	v_sub_u32_e32 v7, v5, v7
	v_subrev_u32_e32 v9, s18, v7
	v_cmp_le_u32_e32 vcc, s18, v7
	v_cndmask_b32_e32 v7, v7, v9, vcc
	v_cndmask_b32_e32 v4, v4, v8, vcc
	v_add_u32_e32 v8, 1, v4
	v_cmp_le_u32_e32 vcc, s18, v7
	v_cndmask_b32_e32 v7, v4, v8, vcc
	v_mov_b32_e32 v8, v3
.LBB0_6:                                ;   in Loop: Header=BB0_2 Depth=1
	s_or_b64 exec, exec, s[0:1]
	v_mul_lo_u32 v4, v8, s18
	v_mul_lo_u32 v11, v7, s19
	v_mad_u64_u32 v[9:10], s[0:1], v7, s18, 0
	s_load_dwordx2 s[0:1], s[6:7], 0x0
	s_add_u32 s16, s16, 1
	v_add3_u32 v4, v10, v11, v4
	v_sub_co_u32_e32 v5, vcc, v5, v9
	v_subb_co_u32_e32 v4, vcc, v6, v4, vcc
	s_waitcnt lgkmcnt(0)
	v_mul_lo_u32 v4, s0, v4
	v_mul_lo_u32 v6, s1, v5
	v_mad_u64_u32 v[1:2], s[0:1], s0, v5, v[1:2]
	s_addc_u32 s17, s17, 0
	s_add_u32 s6, s6, 8
	v_add3_u32 v2, v6, v2, v4
	v_mov_b32_e32 v4, s10
	v_mov_b32_e32 v5, s11
	s_addc_u32 s7, s7, 0
	v_cmp_ge_u64_e32 vcc, s[16:17], v[4:5]
	s_add_u32 s14, s14, 8
	s_addc_u32 s15, s15, 0
	s_cbranch_vccnz .LBB0_9
; %bb.7:                                ;   in Loop: Header=BB0_2 Depth=1
	v_mov_b32_e32 v5, v7
	v_mov_b32_e32 v6, v8
	s_branch .LBB0_2
.LBB0_8:
	v_mov_b32_e32 v8, v6
	v_mov_b32_e32 v7, v5
.LBB0_9:
	s_lshl_b64 s[0:1], s[10:11], 3
	s_add_u32 s0, s2, s0
	s_addc_u32 s1, s3, s1
	s_load_dwordx2 s[2:3], s[0:1], 0x0
	s_load_dwordx2 s[6:7], s[4:5], 0x20
                                        ; implicit-def: $vgpr6
	s_waitcnt lgkmcnt(0)
	v_mad_u64_u32 v[1:2], s[0:1], s2, v7, v[1:2]
	s_mov_b32 s0, 0x124924a
	v_mul_lo_u32 v3, s2, v8
	v_mul_lo_u32 v4, s3, v7
	v_mul_hi_u32 v5, v0, s0
	v_cmp_gt_u64_e32 vcc, s[6:7], v[7:8]
	v_cmp_le_u64_e64 s[0:1], s[6:7], v[7:8]
	v_add3_u32 v2, v4, v2, v3
	v_mul_u32_u24_e32 v3, 0xe0, v5
	v_sub_u32_e32 v0, v0, v3
                                        ; implicit-def: $vgpr4
	s_and_saveexec_b64 s[2:3], s[0:1]
	s_xor_b64 s[0:1], exec, s[2:3]
; %bb.10:
	v_add_u32_e32 v4, 0xe0, v0
	v_add_u32_e32 v6, 0x1c0, v0
; %bb.11:
	s_or_saveexec_b64 s[2:3], s[0:1]
	v_lshlrev_b64 v[2:3], 2, v[1:2]
	s_xor_b64 exec, exec, s[2:3]
	s_cbranch_execz .LBB0_13
; %bb.12:
	v_mov_b32_e32 v1, 0
	v_mov_b32_e32 v4, s13
	v_add_co_u32_e64 v6, s[0:1], s12, v2
	v_addc_co_u32_e64 v7, s[0:1], v4, v3, s[0:1]
	v_lshlrev_b64 v[4:5], 2, v[0:1]
	v_add_co_u32_e64 v4, s[0:1], v6, v4
	v_addc_co_u32_e64 v5, s[0:1], v7, v5, s[0:1]
	global_load_dword v1, v[4:5], off
	global_load_dword v7, v[4:5], off offset:896
	global_load_dword v8, v[4:5], off offset:1792
	;; [unrolled: 1-line block ×4, first 2 shown]
	v_lshl_add_u32 v5, v0, 2, 0
	v_add_u32_e32 v4, 0xe0, v0
	v_add_u32_e32 v6, 0x1c0, v0
	v_add_u32_e32 v11, 0x700, v5
	s_waitcnt vmcnt(3)
	ds_write2_b32 v5, v1, v7 offset1:224
	s_waitcnt vmcnt(1)
	ds_write2_b32 v11, v8, v9 offset1:224
	s_waitcnt vmcnt(0)
	ds_write_b32 v5, v10 offset:3584
.LBB0_13:
	s_or_b64 exec, exec, s[2:3]
	v_lshlrev_b32_e32 v1, 2, v0
	v_add_u32_e32 v13, 0, v1
	v_add_u32_e32 v5, 0x600, v13
	s_waitcnt lgkmcnt(0)
	s_barrier
	ds_read2_b32 v[7:8], v5 offset0:64 offset1:176
	v_add_u32_e32 v5, 0xc00, v13
	ds_read2_b32 v[10:11], v5 offset0:16 offset1:240
	ds_read2_b32 v[14:15], v13 offset1:224
	s_movk_i32 s0, 0x6f
	v_cmp_lt_u32_e64 s[2:3], s0, v0
	s_movk_i32 s0, 0x70
	s_waitcnt lgkmcnt(1)
	v_pk_add_f16 v12, v7, v11 neg_lo:[0,1] neg_hi:[0,1]
	s_waitcnt lgkmcnt(0)
	v_pk_add_f16 v8, v14, v8 neg_lo:[0,1] neg_hi:[0,1]
	v_pk_fma_f16 v9, v7, 2.0, v12 op_sel_hi:[1,0,1] neg_lo:[0,0,1] neg_hi:[0,0,1]
	v_add_u32_e32 v5, v13, v1
	v_lshl_add_u32 v11, v4, 3, 0
	v_pk_add_f16 v7, v15, v10 neg_lo:[0,1] neg_hi:[0,1]
	v_pk_fma_f16 v14, v14, 2.0, v8 op_sel_hi:[1,0,1] neg_lo:[0,0,1] neg_hi:[0,0,1]
	v_cmp_gt_u32_e64 s[0:1], s0, v0
	v_pk_fma_f16 v10, v15, 2.0, v7 op_sel_hi:[1,0,1] neg_lo:[0,0,1] neg_hi:[0,0,1]
	s_barrier
	ds_write2_b32 v5, v14, v8 offset1:1
	ds_write2_b32 v11, v10, v7 offset1:1
	s_and_saveexec_b64 s[4:5], s[0:1]
	s_cbranch_execz .LBB0_15
; %bb.14:
	v_lshl_add_u32 v5, v6, 3, 0
	ds_write2_b32 v5, v9, v12 offset1:1
.LBB0_15:
	s_or_b64 exec, exec, s[4:5]
	v_add_u32_e32 v5, 0x880, v13
	v_lshlrev_b32_e32 v10, 2, v4
	s_waitcnt lgkmcnt(0)
	s_barrier
	ds_read2_b32 v[7:8], v5 offset0:16 offset1:240
	v_sub_u32_e32 v5, v11, v10
	ds_read_b32 v15, v13
	ds_read_b32 v16, v5
                                        ; implicit-def: $vgpr17
	s_and_saveexec_b64 s[4:5], s[2:3]
	s_xor_b64 s[4:5], exec, s[4:5]
; %bb.16:
	v_lshrrev_b32_e32 v17, 16, v12
; %bb.17:
	s_or_saveexec_b64 s[4:5], s[4:5]
	v_lshlrev_b32_e32 v5, 1, v4
	v_lshl_add_u32 v14, v6, 2, 0
	s_xor_b64 exec, exec, s[4:5]
	s_cbranch_execz .LBB0_19
; %bb.18:
	ds_read_b32 v12, v13 offset:4032
	ds_read_b32 v9, v14
	s_waitcnt lgkmcnt(1)
	v_lshrrev_b32_e32 v17, 16, v12
.LBB0_19:
	s_or_b64 exec, exec, s[4:5]
	v_and_b32_e32 v19, 1, v0
	v_lshlrev_b32_e32 v18, 2, v19
	global_load_dword v20, v18, s[8:9]
	s_mov_b32 s6, 0xffff
	v_sub_u32_e32 v18, 0, v10
	v_lshlrev_b32_e32 v10, 1, v0
	s_movk_i32 s4, 0x1fc
	s_waitcnt lgkmcnt(0)
	v_lshrrev_b32_e32 v21, 16, v9
	s_movk_i32 s5, 0x3fc
	v_and_or_b32 v22, v10, s4, v19
	v_and_or_b32 v23, v5, s5, v19
	v_lshl_add_u32 v22, v22, 2, 0
	v_lshl_add_u32 v23, v23, 2, 0
	s_waitcnt vmcnt(0)
	s_barrier
	v_pk_mul_f16 v24, v20, v8 op_sel:[0,1]
	v_pk_mul_f16 v25, v20, v7 op_sel:[0,1]
	v_mul_f16_sdwa v26, v17, v20 dst_sel:DWORD dst_unused:UNUSED_PAD src0_sel:DWORD src1_sel:WORD_1
	v_pk_fma_f16 v28, v20, v8, v24 op_sel:[0,0,1] op_sel_hi:[1,1,0]
	v_pk_fma_f16 v8, v20, v8, v24 op_sel:[0,0,1] op_sel_hi:[1,0,0] neg_lo:[1,0,0] neg_hi:[1,0,0]
	v_pk_fma_f16 v24, v20, v7, v25 op_sel:[0,0,1] op_sel_hi:[1,1,0]
	v_pk_fma_f16 v7, v20, v7, v25 op_sel:[0,0,1] op_sel_hi:[1,0,0] neg_lo:[1,0,0] neg_hi:[1,0,0]
	v_mul_f16_sdwa v27, v12, v20 dst_sel:DWORD dst_unused:UNUSED_PAD src0_sel:DWORD src1_sel:WORD_1
	v_fma_f16 v12, v12, v20, v26
	v_bfi_b32 v8, s6, v28, v8
	v_bfi_b32 v7, s6, v24, v7
	v_fma_f16 v17, v17, v20, -v27
	v_sub_f16_e32 v12, v9, v12
	v_pk_add_f16 v8, v16, v8 neg_lo:[0,1] neg_hi:[0,1]
	v_pk_add_f16 v7, v15, v7 neg_lo:[0,1] neg_hi:[0,1]
	v_sub_f16_e32 v17, v21, v17
	v_fma_f16 v20, v9, 2.0, -v12
	v_pk_fma_f16 v9, v16, 2.0, v8 op_sel_hi:[1,0,1] neg_lo:[0,0,1] neg_hi:[0,0,1]
	v_pk_fma_f16 v15, v15, 2.0, v7 op_sel_hi:[1,0,1] neg_lo:[0,0,1] neg_hi:[0,0,1]
	v_fma_f16 v21, v21, 2.0, -v17
	ds_write2_b32 v22, v15, v7 offset1:2
	ds_write2_b32 v23, v9, v8 offset1:2
	v_lshlrev_b32_e32 v9, 1, v6
	s_and_saveexec_b64 s[4:5], s[0:1]
	s_cbranch_execz .LBB0_21
; %bb.20:
	s_movk_i32 s6, 0x7fc
	v_and_or_b32 v7, v9, s6, v19
	s_mov_b32 s6, 0x5040100
	v_lshl_add_u32 v7, v7, 2, 0
	v_perm_b32 v8, v21, v20, s6
	v_perm_b32 v15, v17, v12, s6
	ds_write2_b32 v7, v8, v15 offset1:2
.LBB0_21:
	s_or_b64 exec, exec, s[4:5]
	v_add_u32_e32 v7, 0x880, v13
	s_waitcnt lgkmcnt(0)
	s_barrier
	ds_read2_b32 v[7:8], v7 offset0:16 offset1:240
	v_add_u32_e32 v15, v11, v18
	ds_read_b32 v16, v13
	ds_read_b32 v18, v15
                                        ; implicit-def: $vgpr19
	s_and_saveexec_b64 s[4:5], s[2:3]
	s_xor_b64 s[4:5], exec, s[4:5]
; %bb.22:
	v_lshlrev_b32_e32 v11, 16, v21
	v_or_b32_sdwa v19, v11, v20 dst_sel:DWORD dst_unused:UNUSED_PAD src0_sel:DWORD src1_sel:WORD_0
; %bb.23:
	s_andn2_saveexec_b64 s[4:5], s[4:5]
	s_cbranch_execz .LBB0_25
; %bb.24:
	ds_read_b32 v12, v13 offset:4032
	ds_read_b32 v19, v14
	s_waitcnt lgkmcnt(1)
	v_lshrrev_b32_e32 v17, 16, v12
.LBB0_25:
	s_or_b64 exec, exec, s[4:5]
	v_and_b32_e32 v20, 3, v0
	v_lshlrev_b32_e32 v11, 2, v20
	global_load_dword v11, v11, s[8:9] offset:8
	s_movk_i32 s4, 0x1f8
	v_and_or_b32 v21, v10, s4, v20
	v_lshl_add_u32 v24, v21, 2, 0
	s_mov_b32 s6, 0xffff
	s_waitcnt lgkmcnt(0)
	v_lshrrev_b32_e32 v22, 16, v19
	s_movk_i32 s5, 0x3f8
	v_and_or_b32 v23, v5, s5, v20
	v_lshl_add_u32 v23, v23, 2, 0
	s_waitcnt vmcnt(0)
	s_barrier
	v_pk_mul_f16 v21, v11, v8 op_sel:[0,1]
	v_pk_mul_f16 v27, v11, v7 op_sel:[0,1]
	v_mul_f16_sdwa v25, v17, v11 dst_sel:DWORD dst_unused:UNUSED_PAD src0_sel:DWORD src1_sel:WORD_1
	v_mul_f16_sdwa v26, v12, v11 dst_sel:DWORD dst_unused:UNUSED_PAD src0_sel:DWORD src1_sel:WORD_1
	v_pk_fma_f16 v28, v11, v8, v21 op_sel:[0,0,1] op_sel_hi:[1,1,0]
	v_pk_fma_f16 v8, v11, v8, v21 op_sel:[0,0,1] op_sel_hi:[1,0,0] neg_lo:[1,0,0] neg_hi:[1,0,0]
	v_pk_fma_f16 v21, v11, v7, v27 op_sel:[0,0,1] op_sel_hi:[1,1,0]
	v_pk_fma_f16 v7, v11, v7, v27 op_sel:[0,0,1] op_sel_hi:[1,0,0] neg_lo:[1,0,0] neg_hi:[1,0,0]
	v_fma_f16 v12, v12, v11, v25
	v_fma_f16 v17, v17, v11, -v26
	v_bfi_b32 v7, s6, v21, v7
	v_bfi_b32 v8, s6, v28, v8
	v_sub_f16_e32 v11, v19, v12
	v_sub_f16_e32 v12, v22, v17
	v_pk_add_f16 v7, v16, v7 neg_lo:[0,1] neg_hi:[0,1]
	v_pk_add_f16 v8, v18, v8 neg_lo:[0,1] neg_hi:[0,1]
	v_fma_f16 v21, v19, 2.0, -v11
	v_fma_f16 v22, v22, 2.0, -v12
	v_pk_fma_f16 v16, v16, 2.0, v7 op_sel_hi:[1,0,1] neg_lo:[0,0,1] neg_hi:[0,0,1]
	v_pk_fma_f16 v17, v18, 2.0, v8 op_sel_hi:[1,0,1] neg_lo:[0,0,1] neg_hi:[0,0,1]
	ds_write2_b32 v24, v16, v7 offset1:4
	ds_write2_b32 v23, v17, v8 offset1:4
	s_and_saveexec_b64 s[4:5], s[0:1]
	s_cbranch_execz .LBB0_27
; %bb.26:
	s_movk_i32 s6, 0x7f8
	v_and_or_b32 v7, v9, s6, v20
	s_mov_b32 s6, 0x5040100
	v_lshl_add_u32 v7, v7, 2, 0
	v_perm_b32 v8, v22, v21, s6
	v_perm_b32 v16, v12, v11, s6
	ds_write2_b32 v7, v8, v16 offset1:4
.LBB0_27:
	s_or_b64 exec, exec, s[4:5]
	v_add_u32_e32 v7, 0x880, v13
	s_waitcnt lgkmcnt(0)
	s_barrier
	ds_read2_b32 v[7:8], v7 offset0:16 offset1:240
	ds_read_b32 v17, v13
	ds_read_b32 v18, v15
                                        ; implicit-def: $vgpr19
	s_and_saveexec_b64 s[4:5], s[2:3]
	s_xor_b64 s[4:5], exec, s[4:5]
; %bb.28:
	v_lshlrev_b32_e32 v16, 16, v22
	v_or_b32_sdwa v19, v16, v21 dst_sel:DWORD dst_unused:UNUSED_PAD src0_sel:DWORD src1_sel:WORD_0
; %bb.29:
	s_andn2_saveexec_b64 s[4:5], s[4:5]
	s_cbranch_execz .LBB0_31
; %bb.30:
	ds_read_b32 v11, v13 offset:4032
	ds_read_b32 v19, v14
	s_waitcnt lgkmcnt(1)
	v_lshrrev_b32_e32 v12, 16, v11
.LBB0_31:
	s_or_b64 exec, exec, s[4:5]
	v_and_b32_e32 v20, 7, v0
	v_lshlrev_b32_e32 v16, 2, v20
	global_load_dword v16, v16, s[8:9] offset:24
	s_mov_b32 s6, 0xffff
	s_waitcnt lgkmcnt(0)
	v_lshrrev_b32_e32 v21, 16, v19
	s_movk_i32 s4, 0x1f0
	s_movk_i32 s5, 0x3f0
	v_and_or_b32 v22, v10, s4, v20
	v_and_or_b32 v23, v5, s5, v20
	v_lshl_add_u32 v22, v22, 2, 0
	v_lshl_add_u32 v23, v23, 2, 0
	s_waitcnt vmcnt(0)
	s_barrier
	v_mul_f16_sdwa v25, v12, v16 dst_sel:DWORD dst_unused:UNUSED_PAD src0_sel:DWORD src1_sel:WORD_1
	v_pk_mul_f16 v27, v16, v7 op_sel:[0,1]
	v_pk_mul_f16 v24, v16, v8 op_sel:[0,1]
	v_mul_f16_sdwa v26, v11, v16 dst_sel:DWORD dst_unused:UNUSED_PAD src0_sel:DWORD src1_sel:WORD_1
	v_fma_f16 v11, v11, v16, v25
	v_pk_fma_f16 v25, v16, v7, v27 op_sel:[0,0,1] op_sel_hi:[1,1,0]
	v_pk_fma_f16 v7, v16, v7, v27 op_sel:[0,0,1] op_sel_hi:[1,0,0] neg_lo:[1,0,0] neg_hi:[1,0,0]
	v_pk_fma_f16 v28, v16, v8, v24 op_sel:[0,0,1] op_sel_hi:[1,1,0]
	v_pk_fma_f16 v8, v16, v8, v24 op_sel:[0,0,1] op_sel_hi:[1,0,0] neg_lo:[1,0,0] neg_hi:[1,0,0]
	v_fma_f16 v24, v12, v16, -v26
	v_bfi_b32 v7, s6, v25, v7
	v_bfi_b32 v8, s6, v28, v8
	v_sub_f16_e32 v12, v19, v11
	v_sub_f16_e32 v16, v21, v24
	v_pk_add_f16 v7, v17, v7 neg_lo:[0,1] neg_hi:[0,1]
	v_pk_add_f16 v8, v18, v8 neg_lo:[0,1] neg_hi:[0,1]
	v_fma_f16 v19, v19, 2.0, -v12
	v_fma_f16 v21, v21, 2.0, -v16
	v_pk_fma_f16 v17, v17, 2.0, v7 op_sel_hi:[1,0,1] neg_lo:[0,0,1] neg_hi:[0,0,1]
	v_pk_fma_f16 v11, v18, 2.0, v8 op_sel_hi:[1,0,1] neg_lo:[0,0,1] neg_hi:[0,0,1]
	ds_write2_b32 v22, v17, v7 offset1:8
	ds_write2_b32 v23, v11, v8 offset1:8
	s_and_saveexec_b64 s[4:5], s[0:1]
	s_cbranch_execz .LBB0_33
; %bb.32:
	s_movk_i32 s6, 0x7f0
	v_and_or_b32 v7, v9, s6, v20
	s_mov_b32 s6, 0x5040100
	v_lshl_add_u32 v7, v7, 2, 0
	v_perm_b32 v8, v21, v19, s6
	v_perm_b32 v11, v16, v12, s6
	ds_write2_b32 v7, v8, v11 offset1:8
.LBB0_33:
	s_or_b64 exec, exec, s[4:5]
	v_add_u32_e32 v7, 0x880, v13
	s_waitcnt lgkmcnt(0)
	s_barrier
	ds_read2_b32 v[7:8], v7 offset0:16 offset1:240
	ds_read_b32 v17, v13
	ds_read_b32 v18, v15
                                        ; implicit-def: $vgpr11
	s_and_saveexec_b64 s[4:5], s[2:3]
	s_xor_b64 s[4:5], exec, s[4:5]
; %bb.34:
	v_lshlrev_b32_e32 v11, 16, v21
	v_or_b32_sdwa v11, v11, v19 dst_sel:DWORD dst_unused:UNUSED_PAD src0_sel:DWORD src1_sel:WORD_0
; %bb.35:
	s_andn2_saveexec_b64 s[4:5], s[4:5]
	s_cbranch_execz .LBB0_37
; %bb.36:
	ds_read_b32 v12, v13 offset:4032
	ds_read_b32 v11, v14
	s_waitcnt lgkmcnt(1)
	v_lshrrev_b32_e32 v16, 16, v12
.LBB0_37:
	s_or_b64 exec, exec, s[4:5]
	v_and_b32_e32 v19, 15, v0
	v_lshlrev_b32_e32 v20, 2, v19
	global_load_dword v20, v20, s[8:9] offset:56
	s_mov_b32 s4, 0xffff
	s_movk_i32 s5, 0x1e0
	s_movk_i32 s6, 0x3e0
	v_and_or_b32 v10, v10, s5, v19
	v_and_or_b32 v5, v5, s6, v19
	v_lshl_add_u32 v10, v10, 2, 0
	v_lshl_add_u32 v5, v5, 2, 0
	s_waitcnt vmcnt(0) lgkmcnt(0)
	s_barrier
	v_pk_mul_f16 v16, v16, v20 op_sel_hi:[0,1]
	v_pk_mul_f16 v21, v20, v7 op_sel:[0,1]
	v_pk_mul_f16 v22, v20, v8 op_sel:[0,1]
	v_pk_fma_f16 v23, v12, v20, v16 op_sel:[0,0,1] op_sel_hi:[1,1,0]
	v_pk_fma_f16 v12, v12, v20, v16 op_sel:[0,0,1] op_sel_hi:[0,1,0] neg_lo:[1,0,0] neg_hi:[1,0,0]
	v_pk_fma_f16 v16, v20, v7, v21 op_sel:[0,0,1] op_sel_hi:[1,1,0]
	v_pk_fma_f16 v7, v20, v7, v21 op_sel:[0,0,1] op_sel_hi:[1,0,0] neg_lo:[1,0,0] neg_hi:[1,0,0]
	;; [unrolled: 2-line block ×3, first 2 shown]
	v_bfi_b32 v7, s4, v16, v7
	v_bfi_b32 v12, s4, v23, v12
	;; [unrolled: 1-line block ×3, first 2 shown]
	v_pk_add_f16 v7, v17, v7 neg_lo:[0,1] neg_hi:[0,1]
	v_pk_add_f16 v8, v11, v12 neg_lo:[0,1] neg_hi:[0,1]
	;; [unrolled: 1-line block ×3, first 2 shown]
	v_pk_fma_f16 v16, v17, 2.0, v7 op_sel_hi:[1,0,1] neg_lo:[0,0,1] neg_hi:[0,0,1]
	v_pk_fma_f16 v17, v18, 2.0, v12 op_sel_hi:[1,0,1] neg_lo:[0,0,1] neg_hi:[0,0,1]
	ds_write2_b32 v10, v16, v7 offset1:16
	ds_write2_b32 v5, v17, v12 offset1:16
	v_lshrrev_b32_e32 v5, 16, v8
	s_and_saveexec_b64 s[4:5], s[2:3]
	s_xor_b64 s[2:3], exec, s[4:5]
; %bb.38:
                                        ; implicit-def: $vgpr9
                                        ; implicit-def: $vgpr19
                                        ; implicit-def: $vgpr11
; %bb.39:
	s_andn2_saveexec_b64 s[2:3], s[2:3]
	s_cbranch_execz .LBB0_41
; %bb.40:
	s_movk_i32 s4, 0x7e0
	v_and_or_b32 v7, v9, s4, v19
	v_lshl_add_u32 v7, v7, 2, 0
	v_pk_fma_f16 v9, v11, 2.0, v8 op_sel_hi:[1,0,1] neg_lo:[0,0,1] neg_hi:[0,0,1]
	ds_write2_b32 v7, v9, v8 offset1:16
.LBB0_41:
	s_or_b64 exec, exec, s[2:3]
	v_and_b32_e32 v21, 31, v0
	v_lshlrev_b32_e32 v7, 4, v21
	s_waitcnt lgkmcnt(0)
	s_barrier
	global_load_dwordx4 v[9:12], v7, s[8:9] offset:120
	v_add_u32_e32 v16, 0xa80, v13
	ds_read_b32 v7, v13
	ds_read_u16 v18, v13 offset:2
	ds_read_b32 v19, v15
	ds_read_b32 v20, v14
	ds_read2_b32 v[16:17], v16 offset1:224
	s_movk_i32 s5, 0x3b9c
	s_mov_b32 s2, 0xbb9c
	s_waitcnt lgkmcnt(2)
	v_lshrrev_b32_e32 v22, 16, v19
	s_waitcnt lgkmcnt(1)
	v_lshrrev_b32_e32 v23, 16, v20
	;; [unrolled: 2-line block ×3, first 2 shown]
	v_lshrrev_b32_e32 v25, 16, v17
	s_mov_b32 s3, 0xb8b4
	s_movk_i32 s4, 0x34f2
	s_movk_i32 s6, 0x38b4
	s_waitcnt vmcnt(0)
	s_barrier
	v_mul_f16_sdwa v26, v9, v22 dst_sel:DWORD dst_unused:UNUSED_PAD src0_sel:WORD_1 src1_sel:DWORD
	v_mul_f16_sdwa v28, v10, v23 dst_sel:DWORD dst_unused:UNUSED_PAD src0_sel:WORD_1 src1_sel:DWORD
	;; [unrolled: 1-line block ×8, first 2 shown]
	v_fma_f16 v19, v9, v19, v26
	v_fma_f16 v20, v10, v20, v28
	v_fma_f16 v16, v11, v16, v30
	v_fma_f16 v17, v12, v17, v32
	v_fma_f16 v9, v9, v22, -v27
	v_fma_f16 v10, v10, v23, -v29
	;; [unrolled: 1-line block ×4, first 2 shown]
	v_add_f16_e32 v22, v19, v7
	v_add_f16_e32 v23, v20, v16
	v_sub_f16_e32 v26, v19, v20
	v_sub_f16_e32 v27, v17, v16
	v_add_f16_e32 v28, v19, v17
	v_sub_f16_e32 v24, v9, v12
	v_sub_f16_e32 v25, v10, v11
	;; [unrolled: 1-line block ×4, first 2 shown]
	v_add_f16_e32 v31, v18, v9
	v_add_f16_e32 v32, v10, v11
	v_sub_f16_e32 v33, v19, v17
	v_sub_f16_e32 v34, v20, v16
	;; [unrolled: 1-line block ×3, first 2 shown]
	v_add_f16_e32 v26, v26, v27
	v_sub_f16_e32 v27, v10, v9
	v_add_f16_e32 v9, v9, v12
	v_add_f16_e32 v20, v22, v20
	v_fma_f16 v23, v23, -0.5, v7
	v_fma_f16 v7, v28, -0.5, v7
	v_add_f16_e32 v28, v29, v30
	v_add_f16_e32 v10, v31, v10
	v_fma_f16 v29, v32, -0.5, v18
	v_fma_f16 v30, v9, -0.5, v18
	v_add_f16_e32 v9, v20, v16
	v_fma_f16 v20, v25, s5, v7
	v_sub_f16_e32 v35, v12, v11
	v_sub_f16_e32 v22, v11, v12
	v_fma_f16 v16, v24, s2, v23
	v_fma_f16 v18, v24, s5, v23
	v_add_f16_e32 v10, v10, v11
	v_fma_f16 v11, v33, s5, v29
	v_fma_f16 v20, v24, s3, v20
	v_add_f16_e32 v22, v27, v22
	;; [unrolled: 3-line block ×3, first 2 shown]
	v_fma_f16 v17, v25, s3, v16
	v_fma_f16 v18, v25, s6, v18
	;; [unrolled: 1-line block ×11, first 2 shown]
	v_lshrrev_b32_e32 v22, 5, v0
	v_add_f16_e32 v19, v19, v35
	v_fma_f16 v23, v33, s2, v29
	v_mul_u32_u24_e32 v22, 0xa0, v22
	v_add_f16_e32 v16, v10, v12
	v_fma_f16 v23, v34, s3, v23
	v_fma_f16 v10, v26, s4, v17
	;; [unrolled: 1-line block ×3, first 2 shown]
	v_or_b32_e32 v21, v22, v21
	v_fma_f16 v12, v28, s4, v24
	v_fma_f16 v19, v19, s4, v23
	v_lshl_add_u32 v21, v21, 2, 0
	v_pack_b32_f16 v22, v9, v16
	v_pack_b32_f16 v23, v10, v17
	s_movk_i32 s2, 0xa0
	ds_write2_b32 v21, v22, v23 offset1:32
	v_pack_b32_f16 v22, v11, v18
	v_pack_b32_f16 v23, v12, v20
	ds_write2_b32 v21, v22, v23 offset0:64 offset1:96
	v_pack_b32_f16 v22, v7, v19
	v_cmp_gt_u32_e64 s[2:3], s2, v0
	ds_write_b32 v21, v22 offset:512
	s_waitcnt lgkmcnt(0)
	s_barrier
	s_waitcnt lgkmcnt(0)
                                        ; implicit-def: $vgpr22
                                        ; implicit-def: $vgpr21
	s_and_saveexec_b64 s[4:5], s[2:3]
	s_cbranch_execz .LBB0_43
; %bb.42:
	v_add_u32_e32 v5, 0x400, v13
	v_add_u32_e32 v7, 0xa00, v13
	ds_read2_b32 v[9:10], v13 offset1:160
	ds_read2_b32 v[11:12], v5 offset0:64 offset1:224
	ds_read2_b32 v[7:8], v7 offset1:160
	ds_read_b32 v21, v13 offset:3840
	s_waitcnt lgkmcnt(3)
	v_lshrrev_b32_e32 v16, 16, v9
	v_lshrrev_b32_e32 v17, 16, v10
	s_waitcnt lgkmcnt(2)
	v_lshrrev_b32_e32 v18, 16, v11
	v_lshrrev_b32_e32 v20, 16, v12
	;; [unrolled: 3-line block ×3, first 2 shown]
	s_waitcnt lgkmcnt(0)
	v_lshrrev_b32_e32 v22, 16, v21
.LBB0_43:
	s_or_b64 exec, exec, s[4:5]
	s_barrier
	s_and_saveexec_b64 s[4:5], s[2:3]
	s_cbranch_execz .LBB0_45
; %bb.44:
	v_add_u32_e32 v23, 0xffffff60, v0
	v_cndmask_b32_e64 v23, v23, v0, s[2:3]
	v_mul_i32_i24_e32 v23, 6, v23
	v_mov_b32_e32 v24, 0
	v_lshlrev_b64 v[23:24], 2, v[23:24]
	v_mov_b32_e32 v25, s9
	v_add_co_u32_e64 v27, s[2:3], s8, v23
	v_addc_co_u32_e64 v28, s[2:3], v25, v24, s[2:3]
	global_load_dwordx2 v[29:30], v[27:28], off offset:648
	global_load_dwordx4 v[23:26], v[27:28], off offset:632
	s_mov_b32 s3, 0xb574
	s_movk_i32 s6, 0x2b26
	s_mov_b32 s7, 0xbcab
	s_movk_i32 s11, 0x3574
	s_mov_b32 s2, 0xb70e
	s_mov_b32 s10, 0xbb00
	s_waitcnt vmcnt(1)
	v_mul_f16_sdwa v27, v22, v30 dst_sel:DWORD dst_unused:UNUSED_PAD src0_sel:DWORD src1_sel:WORD_1
	v_mul_f16_sdwa v31, v21, v30 dst_sel:DWORD dst_unused:UNUSED_PAD src0_sel:DWORD src1_sel:WORD_1
	;; [unrolled: 1-line block ×4, first 2 shown]
	s_waitcnt vmcnt(0)
	v_mul_f16_sdwa v34, v18, v24 dst_sel:DWORD dst_unused:UNUSED_PAD src0_sel:DWORD src1_sel:WORD_1
	v_mul_f16_sdwa v35, v12, v25 dst_sel:DWORD dst_unused:UNUSED_PAD src0_sel:DWORD src1_sel:WORD_1
	;; [unrolled: 1-line block ×8, first 2 shown]
	v_fma_f16 v21, v21, v30, v27
	v_fma_f16 v22, v22, v30, -v31
	v_fma_f16 v5, v5, v29, -v32
	v_fma_f16 v8, v8, v29, v33
	v_fma_f16 v11, v11, v24, v34
	v_fma_f16 v17, v17, v23, -v39
	v_fma_f16 v10, v10, v23, v40
	v_fma_f16 v20, v20, v25, -v35
	v_fma_f16 v19, v19, v26, -v38
	;; [unrolled: 1-line block ×3, first 2 shown]
	v_fma_f16 v12, v12, v25, v28
	v_fma_f16 v7, v7, v26, v37
	v_sub_f16_e32 v23, v10, v21
	v_sub_f16_e32 v25, v11, v8
	v_add_f16_e32 v26, v17, v22
	v_add_f16_e32 v27, v20, v19
	;; [unrolled: 1-line block ×5, first 2 shown]
	v_sub_f16_e32 v24, v7, v12
	v_add_f16_e32 v7, v12, v7
	v_sub_f16_e32 v11, v17, v22
	v_sub_f16_e32 v12, v19, v20
	;; [unrolled: 1-line block ×5, first 2 shown]
	v_add_f16_e32 v22, v28, v26
	v_sub_f16_e32 v26, v28, v26
	v_add_f16_e32 v28, v8, v10
	v_sub_f16_e32 v17, v23, v24
	v_sub_f16_e32 v18, v24, v25
	v_add_f16_e32 v19, v24, v25
	v_sub_f16_e32 v24, v10, v7
	v_sub_f16_e32 v29, v7, v8
	;; [unrolled: 1-line block ×6, first 2 shown]
	v_add_f16_e32 v12, v12, v5
	v_sub_f16_e32 v5, v5, v11
	v_add_f16_e32 v22, v27, v22
	v_add_f16_e32 v7, v7, v28
	v_mul_f16_e32 v18, 0x3846, v18
	v_mul_f16_e32 v20, 0x3a52, v20
	;; [unrolled: 1-line block ×4, first 2 shown]
	v_add_f16_e32 v11, v12, v11
	v_mul_f16_e32 v12, 0xbb00, v25
	v_mul_f16_e32 v30, 0xbb00, v5
	v_add_f16_e32 v9, v9, v7
	v_add_f16_e32 v16, v16, v22
	;; [unrolled: 1-line block ×3, first 2 shown]
	v_mul_f16_e32 v23, 0x2b26, v21
	v_mul_f16_e32 v27, 0x2b26, v29
	v_fma_f16 v12, v17, s11, -v12
	v_fma_f16 v17, v17, s3, v18
	v_fma_f16 v21, v21, s6, v20
	;; [unrolled: 1-line block ×3, first 2 shown]
	v_fma_f16 v30, v10, s11, -v30
	v_fma_f16 v10, v10, s3, v28
	v_fma_f16 v22, v22, s7, v16
	;; [unrolled: 1-line block ×3, first 2 shown]
	s_mov_b32 s3, 0xb9e0
	s_movk_i32 s6, 0x39e0
	v_fma_f16 v17, v19, s2, v17
	v_fma_f16 v10, v11, s2, v10
	v_add_f16_e32 v21, v21, v22
	v_add_f16_e32 v29, v29, v7
	v_fma_f16 v20, v26, s3, -v20
	v_fma_f16 v23, v26, s6, -v23
	;; [unrolled: 1-line block ×6, first 2 shown]
	v_fma_f16 v12, v19, s2, v12
	v_add_f16_e32 v26, v17, v21
	v_add_f16_e32 v20, v20, v22
	;; [unrolled: 1-line block ×3, first 2 shown]
	v_sub_f16_e32 v23, v29, v10
	v_add_f16_e32 v24, v24, v7
	v_fma_f16 v30, v11, s2, v30
	v_fma_f16 v18, v19, s2, v18
	;; [unrolled: 1-line block ×3, first 2 shown]
	v_add_f16_e32 v7, v8, v7
	v_sub_f16_e32 v17, v21, v17
	v_add_f16_e32 v10, v10, v29
	v_add_f16_e32 v25, v12, v20
	;; [unrolled: 1-line block ×4, first 2 shown]
	v_sub_f16_e32 v5, v7, v5
	v_sub_f16_e32 v7, v20, v12
	v_add_f16_e32 v12, v30, v24
	v_pack_b32_f16 v9, v9, v16
	v_pack_b32_f16 v10, v10, v17
	v_sub_f16_e32 v19, v24, v30
	v_sub_f16_e32 v28, v22, v18
	ds_write2_b32 v13, v9, v10 offset1:160
	v_pack_b32_f16 v7, v12, v7
	v_pack_b32_f16 v5, v5, v11
	v_add_u32_e32 v9, 0x400, v13
	ds_write2_b32 v9, v7, v5 offset0:64 offset1:224
	v_pack_b32_f16 v5, v8, v28
	v_pack_b32_f16 v7, v19, v25
	v_add_u32_e32 v8, 0xa00, v13
	ds_write2_b32 v8, v5, v7 offset1:160
	v_pack_b32_f16 v5, v23, v26
	ds_write_b32 v13, v5 offset:3840
.LBB0_45:
	s_or_b64 exec, exec, s[4:5]
	s_waitcnt lgkmcnt(0)
	s_barrier
	ds_read_b32 v5, v13
	s_add_u32 s6, s8, 0x1178
	s_addc_u32 s7, s9, 0
	v_sub_u32_e32 v8, 0, v1
	v_cmp_ne_u32_e64 s[2:3], 0, v0
                                        ; implicit-def: $vgpr7
                                        ; implicit-def: $vgpr1
	s_and_saveexec_b64 s[4:5], s[2:3]
	s_xor_b64 s[4:5], exec, s[4:5]
	s_cbranch_execz .LBB0_47
; %bb.46:
	v_mov_b32_e32 v1, 0
	v_lshlrev_b64 v[9:10], 2, v[0:1]
	v_mov_b32_e32 v1, s7
	v_add_co_u32_e64 v9, s[2:3], s6, v9
	v_addc_co_u32_e64 v10, s[2:3], v1, v10, s[2:3]
	global_load_dword v7, v[9:10], off
	ds_read_b32 v1, v8 offset:4480
	s_waitcnt lgkmcnt(0)
	v_add_f16_e32 v9, v1, v5
	v_add_f16_sdwa v10, v1, v5 dst_sel:DWORD dst_unused:UNUSED_PAD src0_sel:WORD_1 src1_sel:WORD_1
	v_sub_f16_e32 v11, v5, v1
	v_sub_f16_sdwa v1, v5, v1 dst_sel:DWORD dst_unused:UNUSED_PAD src0_sel:WORD_1 src1_sel:WORD_1
	v_mul_f16_e32 v5, 0.5, v10
	v_mul_f16_e32 v10, 0.5, v11
	;; [unrolled: 1-line block ×3, first 2 shown]
	s_waitcnt vmcnt(0)
	v_lshrrev_b32_e32 v11, 16, v7
	v_mul_f16_e32 v12, v11, v10
	v_fma_f16 v16, v5, v11, v1
	v_fma_f16 v1, v5, v11, -v1
	v_fma_f16 v11, v9, 0.5, v12
	v_fma_f16 v16, -v7, v10, v16
	v_fma_f16 v9, v9, 0.5, -v12
	v_fma_f16 v10, -v7, v10, v1
	v_fma_f16 v1, v7, v5, v11
	ds_write_b16 v13, v16 offset:2
	v_fma_f16 v7, -v7, v5, v9
	ds_write_b16 v8, v10 offset:4482
                                        ; implicit-def: $vgpr5
.LBB0_47:
	s_andn2_saveexec_b64 s[2:3], s[4:5]
	s_cbranch_execz .LBB0_49
; %bb.48:
	v_mov_b32_e32 v9, 0
	ds_write_b16 v13, v9 offset:2
	ds_write_b16 v8, v9 offset:4482
	ds_read_u16 v10, v9 offset:2242
	s_waitcnt lgkmcnt(3)
	v_add_f16_sdwa v1, v5, v5 dst_sel:DWORD dst_unused:UNUSED_PAD src0_sel:WORD_1 src1_sel:DWORD
	v_sub_f16_sdwa v7, v5, v5 dst_sel:DWORD dst_unused:UNUSED_PAD src0_sel:DWORD src1_sel:WORD_1
	s_waitcnt lgkmcnt(0)
	v_xor_b32_e32 v5, 0x8000, v10
	ds_write_b16 v9, v5 offset:2242
.LBB0_49:
	s_or_b64 exec, exec, s[2:3]
	s_waitcnt lgkmcnt(0)
	v_mov_b32_e32 v5, 0
	v_lshlrev_b64 v[9:10], 2, v[4:5]
	v_mov_b32_e32 v4, s7
	v_add_co_u32_e64 v9, s[2:3], s6, v9
	v_addc_co_u32_e64 v10, s[2:3], v4, v10, s[2:3]
	global_load_dword v4, v[9:10], off
	ds_write_b16 v13, v1
	ds_write_b16 v8, v7 offset:4480
	ds_read_b32 v1, v15
	ds_read_b32 v7, v8 offset:3584
	s_mov_b32 s4, 0xffff
	s_waitcnt lgkmcnt(0)
	v_pk_add_f16 v9, v1, v7 neg_lo:[0,1] neg_hi:[0,1]
	v_pk_add_f16 v1, v1, v7
	v_bfi_b32 v7, s4, v9, v1
	v_bfi_b32 v1, s4, v1, v9
	v_pk_mul_f16 v7, v7, 0.5 op_sel_hi:[1,0]
	v_pk_mul_f16 v1, v1, 0.5 op_sel_hi:[1,0]
	s_waitcnt vmcnt(0)
	v_pk_fma_f16 v9, v4, v7, v1 op_sel:[1,0,0]
	v_pk_mul_f16 v10, v4, v7 op_sel_hi:[0,1]
	v_pk_fma_f16 v11, v4, v7, v1 op_sel:[1,0,0] neg_lo:[1,0,0] neg_hi:[1,0,0]
	v_pk_fma_f16 v1, v4, v7, v1 op_sel:[1,0,0] neg_lo:[0,0,1] neg_hi:[0,0,1]
	v_pk_add_f16 v4, v9, v10 op_sel:[0,1] op_sel_hi:[1,0]
	v_pk_add_f16 v7, v9, v10 op_sel:[0,1] op_sel_hi:[1,0] neg_lo:[0,1] neg_hi:[0,1]
	v_pk_add_f16 v9, v11, v10 op_sel:[0,1] op_sel_hi:[1,0] neg_lo:[0,1] neg_hi:[0,1]
	;; [unrolled: 1-line block ×3, first 2 shown]
	v_bfi_b32 v4, s4, v4, v7
	v_bfi_b32 v1, s4, v9, v1
	ds_write_b32 v15, v4
	ds_write_b32 v8, v1 offset:3584
	s_and_saveexec_b64 s[2:3], s[0:1]
	s_cbranch_execz .LBB0_51
; %bb.50:
	v_mov_b32_e32 v7, v5
	v_lshlrev_b64 v[4:5], 2, v[6:7]
	v_mov_b32_e32 v1, s7
	v_add_co_u32_e64 v4, s[0:1], s6, v4
	v_addc_co_u32_e64 v5, s[0:1], v1, v5, s[0:1]
	global_load_dword v1, v[4:5], off
	ds_read_b32 v4, v14
	ds_read_b32 v5, v8 offset:2688
	s_waitcnt lgkmcnt(0)
	v_pk_add_f16 v6, v4, v5 neg_lo:[0,1] neg_hi:[0,1]
	v_pk_add_f16 v4, v4, v5
	v_bfi_b32 v5, s4, v6, v4
	v_bfi_b32 v4, s4, v4, v6
	v_pk_mul_f16 v5, v5, 0.5 op_sel_hi:[1,0]
	v_pk_mul_f16 v4, v4, 0.5 op_sel_hi:[1,0]
	s_waitcnt vmcnt(0)
	v_pk_fma_f16 v6, v1, v5, v4 op_sel:[1,0,0]
	v_pk_mul_f16 v7, v1, v5 op_sel_hi:[0,1]
	v_pk_fma_f16 v9, v1, v5, v4 op_sel:[1,0,0] neg_lo:[1,0,0] neg_hi:[1,0,0]
	v_pk_fma_f16 v1, v1, v5, v4 op_sel:[1,0,0] neg_lo:[0,0,1] neg_hi:[0,0,1]
	v_pk_add_f16 v4, v6, v7 op_sel:[0,1] op_sel_hi:[1,0]
	v_pk_add_f16 v5, v6, v7 op_sel:[0,1] op_sel_hi:[1,0] neg_lo:[0,1] neg_hi:[0,1]
	v_pk_add_f16 v6, v9, v7 op_sel:[0,1] op_sel_hi:[1,0] neg_lo:[0,1] neg_hi:[0,1]
	;; [unrolled: 1-line block ×3, first 2 shown]
	v_bfi_b32 v4, s4, v4, v5
	v_bfi_b32 v1, s4, v6, v1
	ds_write_b32 v14, v4
	ds_write_b32 v8, v1 offset:2688
.LBB0_51:
	s_or_b64 exec, exec, s[2:3]
	s_waitcnt lgkmcnt(0)
	s_barrier
	s_and_saveexec_b64 s[0:1], vcc
	s_cbranch_execz .LBB0_54
; %bb.52:
	v_mov_b32_e32 v1, 0
	v_mov_b32_e32 v7, s13
	v_add_co_u32_e32 v4, vcc, s12, v2
	ds_read2_b32 v[5:6], v13 offset1:224
	v_addc_co_u32_e32 v2, vcc, v7, v3, vcc
	v_lshlrev_b64 v[7:8], 2, v[0:1]
	v_add_u32_e32 v3, 0x700, v13
	ds_read2_b32 v[9:10], v3 offset1:224
	v_add_co_u32_e32 v7, vcc, v4, v7
	v_addc_co_u32_e32 v8, vcc, v2, v8, vcc
	s_movk_i32 s0, 0xdf
	ds_read_b32 v3, v13 offset:3584
	v_cmp_eq_u32_e32 vcc, s0, v0
	s_waitcnt lgkmcnt(2)
	global_store_dword v[7:8], v5, off
	global_store_dword v[7:8], v6, off offset:896
	s_waitcnt lgkmcnt(1)
	global_store_dword v[7:8], v9, off offset:1792
	global_store_dword v[7:8], v10, off offset:2688
	s_waitcnt lgkmcnt(0)
	global_store_dword v[7:8], v3, off offset:3584
	s_and_b64 exec, exec, vcc
	s_cbranch_execz .LBB0_54
; %bb.53:
	ds_read_b32 v3, v1 offset:4480
	v_add_co_u32_e32 v0, vcc, 0x1000, v4
	v_addc_co_u32_e32 v1, vcc, 0, v2, vcc
	s_waitcnt lgkmcnt(0)
	global_store_dword v[0:1], v3, off offset:384
.LBB0_54:
	s_endpgm
	.section	.rodata,"a",@progbits
	.p2align	6, 0x0
	.amdhsa_kernel fft_rtc_back_len1120_factors_2_2_2_2_2_5_7_wgs_224_tpt_224_halfLds_half_ip_CI_unitstride_sbrr_R2C_dirReg
		.amdhsa_group_segment_fixed_size 0
		.amdhsa_private_segment_fixed_size 0
		.amdhsa_kernarg_size 88
		.amdhsa_user_sgpr_count 6
		.amdhsa_user_sgpr_private_segment_buffer 1
		.amdhsa_user_sgpr_dispatch_ptr 0
		.amdhsa_user_sgpr_queue_ptr 0
		.amdhsa_user_sgpr_kernarg_segment_ptr 1
		.amdhsa_user_sgpr_dispatch_id 0
		.amdhsa_user_sgpr_flat_scratch_init 0
		.amdhsa_user_sgpr_private_segment_size 0
		.amdhsa_uses_dynamic_stack 0
		.amdhsa_system_sgpr_private_segment_wavefront_offset 0
		.amdhsa_system_sgpr_workgroup_id_x 1
		.amdhsa_system_sgpr_workgroup_id_y 0
		.amdhsa_system_sgpr_workgroup_id_z 0
		.amdhsa_system_sgpr_workgroup_info 0
		.amdhsa_system_vgpr_workitem_id 0
		.amdhsa_next_free_vgpr 41
		.amdhsa_next_free_sgpr 22
		.amdhsa_reserve_vcc 1
		.amdhsa_reserve_flat_scratch 0
		.amdhsa_float_round_mode_32 0
		.amdhsa_float_round_mode_16_64 0
		.amdhsa_float_denorm_mode_32 3
		.amdhsa_float_denorm_mode_16_64 3
		.amdhsa_dx10_clamp 1
		.amdhsa_ieee_mode 1
		.amdhsa_fp16_overflow 0
		.amdhsa_exception_fp_ieee_invalid_op 0
		.amdhsa_exception_fp_denorm_src 0
		.amdhsa_exception_fp_ieee_div_zero 0
		.amdhsa_exception_fp_ieee_overflow 0
		.amdhsa_exception_fp_ieee_underflow 0
		.amdhsa_exception_fp_ieee_inexact 0
		.amdhsa_exception_int_div_zero 0
	.end_amdhsa_kernel
	.text
.Lfunc_end0:
	.size	fft_rtc_back_len1120_factors_2_2_2_2_2_5_7_wgs_224_tpt_224_halfLds_half_ip_CI_unitstride_sbrr_R2C_dirReg, .Lfunc_end0-fft_rtc_back_len1120_factors_2_2_2_2_2_5_7_wgs_224_tpt_224_halfLds_half_ip_CI_unitstride_sbrr_R2C_dirReg
                                        ; -- End function
	.section	.AMDGPU.csdata,"",@progbits
; Kernel info:
; codeLenInByte = 5792
; NumSgprs: 26
; NumVgprs: 41
; ScratchSize: 0
; MemoryBound: 0
; FloatMode: 240
; IeeeMode: 1
; LDSByteSize: 0 bytes/workgroup (compile time only)
; SGPRBlocks: 3
; VGPRBlocks: 10
; NumSGPRsForWavesPerEU: 26
; NumVGPRsForWavesPerEU: 41
; Occupancy: 5
; WaveLimiterHint : 1
; COMPUTE_PGM_RSRC2:SCRATCH_EN: 0
; COMPUTE_PGM_RSRC2:USER_SGPR: 6
; COMPUTE_PGM_RSRC2:TRAP_HANDLER: 0
; COMPUTE_PGM_RSRC2:TGID_X_EN: 1
; COMPUTE_PGM_RSRC2:TGID_Y_EN: 0
; COMPUTE_PGM_RSRC2:TGID_Z_EN: 0
; COMPUTE_PGM_RSRC2:TIDIG_COMP_CNT: 0
	.type	__hip_cuid_cf161d5a37f6e1c2,@object ; @__hip_cuid_cf161d5a37f6e1c2
	.section	.bss,"aw",@nobits
	.globl	__hip_cuid_cf161d5a37f6e1c2
__hip_cuid_cf161d5a37f6e1c2:
	.byte	0                               ; 0x0
	.size	__hip_cuid_cf161d5a37f6e1c2, 1

	.ident	"AMD clang version 19.0.0git (https://github.com/RadeonOpenCompute/llvm-project roc-6.4.0 25133 c7fe45cf4b819c5991fe208aaa96edf142730f1d)"
	.section	".note.GNU-stack","",@progbits
	.addrsig
	.addrsig_sym __hip_cuid_cf161d5a37f6e1c2
	.amdgpu_metadata
---
amdhsa.kernels:
  - .args:
      - .actual_access:  read_only
        .address_space:  global
        .offset:         0
        .size:           8
        .value_kind:     global_buffer
      - .offset:         8
        .size:           8
        .value_kind:     by_value
      - .actual_access:  read_only
        .address_space:  global
        .offset:         16
        .size:           8
        .value_kind:     global_buffer
      - .actual_access:  read_only
        .address_space:  global
        .offset:         24
        .size:           8
        .value_kind:     global_buffer
      - .offset:         32
        .size:           8
        .value_kind:     by_value
      - .actual_access:  read_only
        .address_space:  global
        .offset:         40
        .size:           8
        .value_kind:     global_buffer
      - .actual_access:  read_only
        .address_space:  global
        .offset:         48
        .size:           8
        .value_kind:     global_buffer
      - .offset:         56
        .size:           4
        .value_kind:     by_value
      - .actual_access:  read_only
        .address_space:  global
        .offset:         64
        .size:           8
        .value_kind:     global_buffer
      - .actual_access:  read_only
        .address_space:  global
        .offset:         72
        .size:           8
        .value_kind:     global_buffer
      - .address_space:  global
        .offset:         80
        .size:           8
        .value_kind:     global_buffer
    .group_segment_fixed_size: 0
    .kernarg_segment_align: 8
    .kernarg_segment_size: 88
    .language:       OpenCL C
    .language_version:
      - 2
      - 0
    .max_flat_workgroup_size: 224
    .name:           fft_rtc_back_len1120_factors_2_2_2_2_2_5_7_wgs_224_tpt_224_halfLds_half_ip_CI_unitstride_sbrr_R2C_dirReg
    .private_segment_fixed_size: 0
    .sgpr_count:     26
    .sgpr_spill_count: 0
    .symbol:         fft_rtc_back_len1120_factors_2_2_2_2_2_5_7_wgs_224_tpt_224_halfLds_half_ip_CI_unitstride_sbrr_R2C_dirReg.kd
    .uniform_work_group_size: 1
    .uses_dynamic_stack: false
    .vgpr_count:     41
    .vgpr_spill_count: 0
    .wavefront_size: 64
amdhsa.target:   amdgcn-amd-amdhsa--gfx906
amdhsa.version:
  - 1
  - 2
...

	.end_amdgpu_metadata
